;; amdgpu-corpus repo=ROCm/hip-tests kind=compiled arch=gfx1100 opt=O3
	.text
	.amdgcn_target "amdgcn-amd-amdhsa--gfx1100"
	.amdhsa_code_object_version 6
	.protected	_Z14fp16_arith_gpuPfS_S_ ; -- Begin function _Z14fp16_arith_gpuPfS_S_
	.globl	_Z14fp16_arith_gpuPfS_S_
	.p2align	8
	.type	_Z14fp16_arith_gpuPfS_S_,@function
_Z14fp16_arith_gpuPfS_S_:               ; @_Z14fp16_arith_gpuPfS_S_
; %bb.0:
	s_clause 0x1
	s_load_b128 s[4:7], s[0:1], 0x0
	s_load_b64 s[0:1], s[0:1], 0x10
	s_waitcnt lgkmcnt(0)
	s_load_b32 s2, s[4:5], 0x0
	s_load_b32 s3, s[6:7], 0x0
	s_waitcnt lgkmcnt(0)
	v_cvt_f16_f32_e32 v0, s2
	v_cvt_f16_f32_e32 v1, s3
	s_mov_b32 s2, 0xbfc90000
	s_mov_b32 s3, 0xb5aa2217
	s_delay_alu instid0(VALU_DEP_1) | instskip(SKIP_1) | instid1(VALU_DEP_2)
	v_add_f16_e32 v0, v0, v1
	v_mov_b32_e32 v1, 0
	v_cvt_f32_f16_e32 v0, v0
	global_store_b32 v1, v0, s[0:1]
	s_clause 0x1
	global_load_b32 v0, v1, s[4:5] offset:4
	global_load_b32 v2, v1, s[6:7] offset:4
	s_waitcnt vmcnt(1)
	v_cvt_f16_f32_e32 v0, v0
	s_waitcnt vmcnt(0)
	v_cvt_f16_f32_e32 v2, v2
	s_delay_alu instid0(VALU_DEP_1) | instskip(NEXT) | instid1(VALU_DEP_1)
	v_sub_f16_e32 v0, v0, v2
	v_cvt_f32_f16_e32 v0, v0
	global_store_b32 v1, v0, s[0:1] offset:4
	s_clause 0x1
	global_load_b32 v0, v1, s[4:5] offset:8
	global_load_b32 v2, v1, s[6:7] offset:8
	s_waitcnt vmcnt(1)
	v_cvt_f16_f32_e32 v0, v0
	s_waitcnt vmcnt(0)
	v_cvt_f16_f32_e32 v2, v2
	s_delay_alu instid0(VALU_DEP_1) | instskip(NEXT) | instid1(VALU_DEP_1)
	v_mul_f16_e32 v0, v0, v2
	v_cvt_f32_f16_e32 v0, v0
	global_store_b32 v1, v0, s[0:1] offset:8
	s_clause 0x1
	global_load_b32 v0, v1, s[6:7] offset:12
	global_load_b32 v2, v1, s[4:5] offset:12
	s_movk_i32 s6, 0x202c
	s_movk_i32 s7, 0x292d
	s_waitcnt vmcnt(1)
	v_cvt_f16_f32_e32 v0, v0
	s_waitcnt vmcnt(0)
	v_cvt_f16_f32_e32 v2, v2
	s_delay_alu instid0(VALU_DEP_2) | instskip(NEXT) | instid1(VALU_DEP_2)
	v_cvt_f32_f16_e32 v3, v0
	v_cvt_f32_f16_e32 v4, v2
	s_delay_alu instid0(VALU_DEP_2) | instskip(SKIP_2) | instid1(VALU_DEP_1)
	v_rcp_f32_e32 v3, v3
	s_waitcnt_depctr 0xfff
	v_mul_f32_e32 v4, v4, v3
	v_fma_mix_f32 v5, -v0, v4, v2 op_sel_hi:[1,0,1]
	s_delay_alu instid0(VALU_DEP_1) | instskip(NEXT) | instid1(VALU_DEP_1)
	v_fmac_f32_e32 v4, v5, v3
	v_fma_mix_f32 v5, -v0, v4, v2 op_sel_hi:[1,0,1]
	s_delay_alu instid0(VALU_DEP_1) | instskip(NEXT) | instid1(VALU_DEP_1)
	v_mul_f32_e32 v3, v5, v3
	v_and_b32_e32 v3, 0xff800000, v3
	s_delay_alu instid0(VALU_DEP_1) | instskip(NEXT) | instid1(VALU_DEP_1)
	v_add_f32_e32 v3, v3, v4
	v_cvt_f16_f32_e32 v3, v3
	s_delay_alu instid0(VALU_DEP_1) | instskip(NEXT) | instid1(VALU_DEP_1)
	v_div_fixup_f16 v0, v3, v0, v2
	v_cvt_f32_f16_e32 v0, v0
	global_store_b32 v1, v0, s[0:1] offset:12
	global_load_b32 v0, v1, s[4:5] offset:16
	s_waitcnt vmcnt(0)
	v_cvt_f16_f32_e32 v0, v0
	s_delay_alu instid0(VALU_DEP_1) | instskip(NEXT) | instid1(VALU_DEP_1)
	v_floor_f16_e32 v0, v0
	v_cvt_f32_f16_e32 v0, v0
	global_store_b32 v1, v0, s[0:1] offset:16
	global_load_b32 v0, v1, s[4:5] offset:20
	s_waitcnt vmcnt(0)
	v_cvt_f16_f32_e32 v0, v0
	s_delay_alu instid0(VALU_DEP_1) | instskip(NEXT) | instid1(VALU_DEP_1)
	v_trunc_f16_e32 v0, v0
	v_cvt_f32_f16_e32 v0, v0
	global_store_b32 v1, v0, s[0:1] offset:20
	global_load_b32 v0, v1, s[4:5] offset:24
	s_waitcnt vmcnt(0)
	v_cvt_f16_f32_e32 v0, v0
	s_delay_alu instid0(VALU_DEP_1) | instskip(NEXT) | instid1(VALU_DEP_1)
	v_ceil_f16_e32 v0, v0
	v_cvt_f32_f16_e32 v0, v0
	global_store_b32 v1, v0, s[0:1] offset:24
	global_load_b32 v0, v1, s[4:5] offset:28
	s_waitcnt vmcnt(0)
	v_cvt_f16_f32_e32 v0, v0
	s_delay_alu instid0(VALU_DEP_1) | instskip(NEXT) | instid1(VALU_DEP_1)
	v_rndne_f16_e32 v0, v0
	v_cvt_f32_f16_e32 v0, v0
	global_store_b32 v1, v0, s[0:1] offset:28
	global_load_b32 v0, v1, s[4:5] offset:32
	s_waitcnt vmcnt(0)
	v_cvt_f16_f32_e32 v0, v0
	s_delay_alu instid0(VALU_DEP_1) | instskip(NEXT) | instid1(VALU_DEP_1)
	v_cvt_f32_f16_e64 v2, |v0|
	v_mul_f32_e32 v2, 0x3f22f983, v2
	s_delay_alu instid0(VALU_DEP_1) | instskip(NEXT) | instid1(VALU_DEP_1)
	v_rndne_f32_e32 v2, v2
	v_fma_mix_f32 v3, v2, s2, |v0| op_sel_hi:[0,0,1]
	s_delay_alu instid0(VALU_DEP_1) | instskip(NEXT) | instid1(VALU_DEP_1)
	v_fmac_f32_e32 v3, 0xb9fd0000, v2
	v_fma_mixlo_f16 v3, v2, s3, v3
	v_cvt_i32_f32_e32 v2, v2
	s_delay_alu instid0(VALU_DEP_2) | instskip(NEXT) | instid1(VALU_DEP_2)
	v_mul_f16_e32 v4, v3, v3
	v_lshlrev_b32_e32 v6, 14, v2
	v_and_b32_e32 v2, 1, v2
	s_delay_alu instid0(VALU_DEP_3) | instskip(SKIP_1) | instid1(VALU_DEP_4)
	v_fmaak_f16 v5, s6, v4, 0xb155
	v_fmaak_f16 v7, s7, v4, 0xb7ff
	v_xor_b32_e32 v6, v6, v0
	s_delay_alu instid0(VALU_DEP_4) | instskip(NEXT) | instid1(VALU_DEP_4)
	v_cmp_eq_u32_e32 vcc_lo, 0, v2
	v_mul_f16_e32 v5, v4, v5
	s_delay_alu instid0(VALU_DEP_4) | instskip(NEXT) | instid1(VALU_DEP_2)
	v_fma_f16 v4, v4, v7, 1.0
	v_fmac_f16_e32 v3, v3, v5
	s_delay_alu instid0(VALU_DEP_1) | instskip(SKIP_1) | instid1(VALU_DEP_2)
	v_dual_cndmask_b32 v2, v4, v3 :: v_dual_and_b32 v5, 0x8000, v6
	v_cmp_class_f16_e64 vcc_lo, v0, 0x1f8
	v_xor_b32_e32 v2, v5, v2
	s_delay_alu instid0(VALU_DEP_1) | instskip(NEXT) | instid1(VALU_DEP_1)
	v_cndmask_b32_e32 v0, 0x7e00, v2, vcc_lo
	v_cvt_f32_f16_e32 v0, v0
	global_store_b32 v1, v0, s[0:1] offset:32
	global_load_b32 v0, v1, s[4:5] offset:36
	s_waitcnt vmcnt(0)
	v_cvt_f16_f32_e32 v0, v0
	s_delay_alu instid0(VALU_DEP_1) | instskip(NEXT) | instid1(VALU_DEP_1)
	v_cvt_f32_f16_e64 v2, |v0|
	v_mul_f32_e32 v2, 0x3f22f983, v2
	s_delay_alu instid0(VALU_DEP_1) | instskip(NEXT) | instid1(VALU_DEP_1)
	v_rndne_f32_e32 v2, v2
	v_fma_mix_f32 v3, v2, s2, |v0| op_sel_hi:[0,0,1]
	s_mov_b32 s2, 0x3f317218
	s_delay_alu instid0(VALU_DEP_1) | instskip(NEXT) | instid1(VALU_DEP_1)
	v_fmac_f32_e32 v3, 0xb9fd0000, v2
	v_fma_mixlo_f16 v3, v2, s3, v3
	v_cvt_i32_f32_e32 v2, v2
	s_delay_alu instid0(VALU_DEP_2) | instskip(NEXT) | instid1(VALU_DEP_1)
	v_mul_f16_e32 v4, v3, v3
	v_fmaak_f16 v5, s6, v4, 0xb155
	v_fmaak_f16 v6, s7, v4, 0xb7ff
	s_delay_alu instid0(VALU_DEP_2) | instskip(NEXT) | instid1(VALU_DEP_2)
	v_mul_f16_e32 v5, v4, v5
	v_fma_f16 v4, v4, v6, 1.0
	s_delay_alu instid0(VALU_DEP_2) | instskip(SKIP_2) | instid1(VALU_DEP_3)
	v_fmac_f16_e32 v3, v3, v5
	v_and_b32_e32 v5, 1, v2
	v_lshlrev_b32_e32 v2, 14, v2
	v_xor_b32_e32 v3, 0x8000, v3
	s_delay_alu instid0(VALU_DEP_3) | instskip(NEXT) | instid1(VALU_DEP_2)
	v_cmp_eq_u32_e32 vcc_lo, 0, v5
	v_dual_cndmask_b32 v3, v3, v4 :: v_dual_and_b32 v2, 0x8000, v2
	v_cmp_class_f16_e64 vcc_lo, v0, 0x1f8
	s_delay_alu instid0(VALU_DEP_2) | instskip(NEXT) | instid1(VALU_DEP_1)
	v_xor_b32_e32 v2, v2, v3
	v_cndmask_b32_e32 v0, 0x7e00, v2, vcc_lo
	s_delay_alu instid0(VALU_DEP_1) | instskip(SKIP_4) | instid1(VALU_DEP_1)
	v_cvt_f32_f16_e32 v0, v0
	global_store_b32 v1, v0, s[0:1] offset:36
	global_load_b32 v0, v1, s[4:5] offset:40
	s_waitcnt vmcnt(0)
	v_cvt_f16_f32_e32 v0, v0
	v_cvt_f32_f16_e32 v0, v0
	s_delay_alu instid0(VALU_DEP_1) | instskip(NEXT) | instid1(VALU_DEP_1)
	v_mul_f32_e32 v0, 0x3fb8aa3b, v0
	v_exp_f32_e32 v0, v0
	s_waitcnt_depctr 0xfff
	v_cvt_f16_f32_e32 v0, v0
	s_delay_alu instid0(VALU_DEP_1) | instskip(SKIP_4) | instid1(VALU_DEP_1)
	v_cvt_f32_f16_e32 v0, v0
	global_store_b32 v1, v0, s[0:1] offset:40
	global_load_b32 v0, v1, s[4:5] offset:44
	s_waitcnt vmcnt(0)
	v_cvt_f16_f32_e32 v0, v0
	v_exp_f16_e32 v0, v0
	s_waitcnt_depctr 0xfff
	v_cvt_f32_f16_e32 v0, v0
	global_store_b32 v1, v0, s[0:1] offset:44
	global_load_b32 v0, v1, s[4:5] offset:48
	s_waitcnt vmcnt(0)
	v_cvt_f16_f32_e32 v0, v0
	s_delay_alu instid0(VALU_DEP_1)
	v_log_f16_e32 v0, v0
	s_waitcnt_depctr 0xfff
	v_cvt_f32_f16_e32 v0, v0
	global_store_b32 v1, v0, s[0:1] offset:48
	global_load_b32 v0, v1, s[4:5] offset:52
	s_waitcnt vmcnt(0)
	v_cvt_f16_f32_e32 v0, v0
	s_delay_alu instid0(VALU_DEP_1) | instskip(NEXT) | instid1(VALU_DEP_1)
	v_cvt_f32_f16_e32 v0, v0
	v_log_f32_e32 v0, v0
	s_waitcnt_depctr 0xfff
	v_fma_mixlo_f16 v0, v0, s2, 0
	s_mov_b32 s2, 0x3e9a209b
	s_delay_alu instid0(VALU_DEP_1) | instskip(SKIP_4) | instid1(VALU_DEP_1)
	v_cvt_f32_f16_e32 v0, v0
	global_store_b32 v1, v0, s[0:1] offset:52
	global_load_b32 v0, v1, s[4:5] offset:56
	s_waitcnt vmcnt(0)
	v_cvt_f16_f32_e32 v0, v0
	v_cvt_f32_f16_e32 v0, v0
	s_delay_alu instid0(VALU_DEP_1) | instskip(SKIP_2) | instid1(VALU_DEP_1)
	v_log_f32_e32 v0, v0
	s_waitcnt_depctr 0xfff
	v_fma_mixlo_f16 v0, v0, s2, 0
	v_cvt_f32_f16_e32 v0, v0
	global_store_b32 v1, v0, s[0:1] offset:56
	global_load_b32 v0, v1, s[4:5] offset:60
	s_waitcnt vmcnt(0)
	v_cvt_f16_f32_e32 v0, v0
	s_delay_alu instid0(VALU_DEP_1)
	v_sqrt_f16_e32 v0, v0
	s_waitcnt_depctr 0xfff
	v_cvt_f32_f16_e32 v0, v0
	global_store_b32 v1, v0, s[0:1] offset:60
	global_load_b32 v0, v1, s[4:5] offset:64
	s_waitcnt vmcnt(0)
	v_cvt_f16_f32_e64 v0, -v0
	s_delay_alu instid0(VALU_DEP_1) | instskip(SKIP_4) | instid1(VALU_DEP_1)
	v_cvt_f32_f16_e32 v0, v0
	global_store_b32 v1, v0, s[0:1] offset:64
	global_load_b32 v0, v1, s[4:5] offset:68
	s_waitcnt vmcnt(0)
	v_cvt_f16_f32_e32 v0, v0
	v_rcp_f16_e32 v0, v0
	s_waitcnt_depctr 0xfff
	v_cvt_f32_f16_e32 v0, v0
	global_store_b32 v1, v0, s[0:1] offset:68
	s_nop 0
	s_sendmsg sendmsg(MSG_DEALLOC_VGPRS)
	s_endpgm
	.section	.rodata,"a",@progbits
	.p2align	6, 0x0
	.amdhsa_kernel _Z14fp16_arith_gpuPfS_S_
		.amdhsa_group_segment_fixed_size 0
		.amdhsa_private_segment_fixed_size 0
		.amdhsa_kernarg_size 24
		.amdhsa_user_sgpr_count 15
		.amdhsa_user_sgpr_dispatch_ptr 0
		.amdhsa_user_sgpr_queue_ptr 0
		.amdhsa_user_sgpr_kernarg_segment_ptr 1
		.amdhsa_user_sgpr_dispatch_id 0
		.amdhsa_user_sgpr_private_segment_size 0
		.amdhsa_wavefront_size32 1
		.amdhsa_uses_dynamic_stack 0
		.amdhsa_enable_private_segment 0
		.amdhsa_system_sgpr_workgroup_id_x 1
		.amdhsa_system_sgpr_workgroup_id_y 0
		.amdhsa_system_sgpr_workgroup_id_z 0
		.amdhsa_system_sgpr_workgroup_info 0
		.amdhsa_system_vgpr_workitem_id 0
		.amdhsa_next_free_vgpr 8
		.amdhsa_next_free_sgpr 8
		.amdhsa_reserve_vcc 1
		.amdhsa_float_round_mode_32 0
		.amdhsa_float_round_mode_16_64 0
		.amdhsa_float_denorm_mode_32 3
		.amdhsa_float_denorm_mode_16_64 3
		.amdhsa_dx10_clamp 1
		.amdhsa_ieee_mode 1
		.amdhsa_fp16_overflow 0
		.amdhsa_workgroup_processor_mode 1
		.amdhsa_memory_ordered 1
		.amdhsa_forward_progress 0
		.amdhsa_shared_vgpr_count 0
		.amdhsa_exception_fp_ieee_invalid_op 0
		.amdhsa_exception_fp_denorm_src 0
		.amdhsa_exception_fp_ieee_div_zero 0
		.amdhsa_exception_fp_ieee_overflow 0
		.amdhsa_exception_fp_ieee_underflow 0
		.amdhsa_exception_fp_ieee_inexact 0
		.amdhsa_exception_int_div_zero 0
	.end_amdhsa_kernel
	.text
.Lfunc_end0:
	.size	_Z14fp16_arith_gpuPfS_S_, .Lfunc_end0-_Z14fp16_arith_gpuPfS_S_
                                        ; -- End function
	.section	.AMDGPU.csdata,"",@progbits
; Kernel info:
; codeLenInByte = 1284
; NumSgprs: 10
; NumVgprs: 8
; ScratchSize: 0
; MemoryBound: 0
; FloatMode: 240
; IeeeMode: 1
; LDSByteSize: 0 bytes/workgroup (compile time only)
; SGPRBlocks: 1
; VGPRBlocks: 0
; NumSGPRsForWavesPerEU: 10
; NumVGPRsForWavesPerEU: 8
; Occupancy: 16
; WaveLimiterHint : 0
; COMPUTE_PGM_RSRC2:SCRATCH_EN: 0
; COMPUTE_PGM_RSRC2:USER_SGPR: 15
; COMPUTE_PGM_RSRC2:TRAP_HANDLER: 0
; COMPUTE_PGM_RSRC2:TGID_X_EN: 1
; COMPUTE_PGM_RSRC2:TGID_Y_EN: 0
; COMPUTE_PGM_RSRC2:TGID_Z_EN: 0
; COMPUTE_PGM_RSRC2:TIDIG_COMP_CNT: 0
	.text
	.protected	_Z15fp162_arith_gpuP15HIP_vector_typeIfLj2EES1_S1_ ; -- Begin function _Z15fp162_arith_gpuP15HIP_vector_typeIfLj2EES1_S1_
	.globl	_Z15fp162_arith_gpuP15HIP_vector_typeIfLj2EES1_S1_
	.p2align	8
	.type	_Z15fp162_arith_gpuP15HIP_vector_typeIfLj2EES1_S1_,@function
_Z15fp162_arith_gpuP15HIP_vector_typeIfLj2EES1_S1_: ; @_Z15fp162_arith_gpuP15HIP_vector_typeIfLj2EES1_S1_
; %bb.0:
	s_clause 0x1
	s_load_b128 s[4:7], s[0:1], 0x0
	s_load_b64 s[0:1], s[0:1], 0x10
	s_waitcnt lgkmcnt(0)
	s_load_b64 s[2:3], s[4:5], 0x0
	s_load_b64 s[8:9], s[6:7], 0x0
	s_waitcnt lgkmcnt(0)
	v_cvt_f16_f32_e32 v0, s2
	v_cvt_f16_f32_e32 v1, s3
	;; [unrolled: 1-line block ×4, first 2 shown]
	s_mov_b32 s2, 0xbfc90000
	s_mov_b32 s3, 0xb5aa2217
	v_pack_b32_f16 v0, v0, v1
	s_delay_alu instid0(VALU_DEP_2) | instskip(NEXT) | instid1(VALU_DEP_1)
	v_pack_b32_f16 v1, v2, v3
	v_pk_add_f16 v1, v0, v1
	v_mov_b32_e32 v0, 0
	s_delay_alu instid0(VALU_DEP_2) | instskip(SKIP_1) | instid1(VALU_DEP_2)
	v_lshrrev_b32_e32 v2, 16, v1
	v_cvt_f32_f16_e32 v1, v1
	v_cvt_f32_f16_e32 v2, v2
	global_store_b64 v0, v[1:2], s[0:1]
	s_clause 0x1
	global_load_b64 v[1:2], v0, s[4:5] offset:8
	global_load_b64 v[3:4], v0, s[6:7] offset:8
	s_waitcnt vmcnt(1)
	v_cvt_f16_f32_e32 v1, v1
	v_cvt_f16_f32_e32 v2, v2
	s_waitcnt vmcnt(0)
	v_cvt_f16_f32_e32 v3, v3
	v_cvt_f16_f32_e32 v4, v4
	s_delay_alu instid0(VALU_DEP_3) | instskip(NEXT) | instid1(VALU_DEP_2)
	v_pack_b32_f16 v1, v1, v2
	v_pack_b32_f16 v2, v3, v4
	s_delay_alu instid0(VALU_DEP_1) | instskip(NEXT) | instid1(VALU_DEP_1)
	v_pk_add_f16 v1, v1, v2 neg_lo:[0,1] neg_hi:[0,1]
	v_lshrrev_b32_e32 v2, 16, v1
	v_cvt_f32_f16_e32 v1, v1
	s_delay_alu instid0(VALU_DEP_2)
	v_cvt_f32_f16_e32 v2, v2
	global_store_b64 v0, v[1:2], s[0:1] offset:8
	s_clause 0x1
	global_load_b64 v[1:2], v0, s[4:5] offset:16
	global_load_b64 v[3:4], v0, s[6:7] offset:16
	s_waitcnt vmcnt(1)
	v_cvt_f16_f32_e32 v1, v1
	v_cvt_f16_f32_e32 v2, v2
	s_waitcnt vmcnt(0)
	v_cvt_f16_f32_e32 v3, v3
	v_cvt_f16_f32_e32 v4, v4
	s_delay_alu instid0(VALU_DEP_3) | instskip(NEXT) | instid1(VALU_DEP_2)
	v_pack_b32_f16 v1, v1, v2
	v_pack_b32_f16 v2, v3, v4
	s_delay_alu instid0(VALU_DEP_1) | instskip(NEXT) | instid1(VALU_DEP_1)
	v_pk_mul_f16 v1, v1, v2
	v_lshrrev_b32_e32 v2, 16, v1
	v_cvt_f32_f16_e32 v1, v1
	s_delay_alu instid0(VALU_DEP_2)
	v_cvt_f32_f16_e32 v2, v2
	global_store_b64 v0, v[1:2], s[0:1] offset:16
	s_clause 0x1
	global_load_b64 v[1:2], v0, s[6:7] offset:24
	global_load_b64 v[3:4], v0, s[4:5] offset:24
	s_movk_i32 s6, 0x202c
	s_movk_i32 s7, 0x292d
	s_waitcnt vmcnt(1)
	v_cvt_f16_f32_e32 v1, v1
	v_cvt_f16_f32_e32 v2, v2
	s_waitcnt vmcnt(0)
	v_cvt_f16_f32_e32 v3, v3
	v_cvt_f16_f32_e32 v4, v4
	v_cvt_f32_f16_e32 v5, v1
	v_cvt_f32_f16_e32 v6, v2
	s_delay_alu instid0(VALU_DEP_4) | instskip(NEXT) | instid1(VALU_DEP_4)
	v_cvt_f32_f16_e32 v7, v3
	v_cvt_f32_f16_e32 v8, v4
	s_delay_alu instid0(VALU_DEP_4) | instskip(NEXT) | instid1(VALU_DEP_3)
	v_rcp_f32_e32 v5, v5
	v_rcp_f32_e32 v6, v6
	s_waitcnt_depctr 0xfff
	v_mul_f32_e32 v7, v7, v5
	s_delay_alu instid0(VALU_DEP_1) | instskip(NEXT) | instid1(VALU_DEP_1)
	v_fma_mix_f32 v9, -v1, v7, v3 op_sel_hi:[1,0,1]
	v_dual_mul_f32 v8, v8, v6 :: v_dual_fmac_f32 v7, v9, v5
	s_delay_alu instid0(VALU_DEP_1) | instskip(NEXT) | instid1(VALU_DEP_2)
	v_fma_mix_f32 v10, -v2, v8, v4 op_sel_hi:[1,0,1]
	v_fma_mix_f32 v9, -v1, v7, v3 op_sel_hi:[1,0,1]
	s_delay_alu instid0(VALU_DEP_1) | instskip(NEXT) | instid1(VALU_DEP_1)
	v_dual_fmac_f32 v8, v10, v6 :: v_dual_mul_f32 v5, v9, v5
	v_fma_mix_f32 v10, -v2, v8, v4 op_sel_hi:[1,0,1]
	s_delay_alu instid0(VALU_DEP_1) | instskip(NEXT) | instid1(VALU_DEP_1)
	v_dual_mul_f32 v6, v10, v6 :: v_dual_and_b32 v5, 0xff800000, v5
	v_dual_add_f32 v5, v5, v7 :: v_dual_and_b32 v6, 0xff800000, v6
	s_delay_alu instid0(VALU_DEP_1) | instskip(NEXT) | instid1(VALU_DEP_2)
	v_cvt_f16_f32_e32 v5, v5
	v_add_f32_e32 v6, v6, v8
	s_delay_alu instid0(VALU_DEP_2) | instskip(NEXT) | instid1(VALU_DEP_2)
	v_div_fixup_f16 v1, v5, v1, v3
	v_cvt_f16_f32_e32 v6, v6
	s_delay_alu instid0(VALU_DEP_2) | instskip(NEXT) | instid1(VALU_DEP_2)
	v_cvt_f32_f16_e32 v1, v1
	v_div_fixup_f16 v2, v6, v2, v4
	s_delay_alu instid0(VALU_DEP_1)
	v_cvt_f32_f16_e32 v2, v2
	global_store_b64 v0, v[1:2], s[0:1] offset:24
	global_load_b64 v[1:2], v0, s[4:5] offset:32
	s_waitcnt vmcnt(0)
	v_cvt_f16_f32_e32 v1, v1
	v_cvt_f16_f32_e32 v2, v2
	s_delay_alu instid0(VALU_DEP_2) | instskip(NEXT) | instid1(VALU_DEP_2)
	v_floor_f16_e32 v1, v1
	v_floor_f16_e32 v2, v2
	s_delay_alu instid0(VALU_DEP_2) | instskip(NEXT) | instid1(VALU_DEP_2)
	v_cvt_f32_f16_e32 v1, v1
	v_cvt_f32_f16_e32 v2, v2
	global_store_b64 v0, v[1:2], s[0:1] offset:32
	global_load_b64 v[1:2], v0, s[4:5] offset:40
	s_waitcnt vmcnt(0)
	v_cvt_f16_f32_e32 v1, v1
	v_cvt_f16_f32_e32 v2, v2
	s_delay_alu instid0(VALU_DEP_2) | instskip(NEXT) | instid1(VALU_DEP_2)
	v_trunc_f16_e32 v1, v1
	v_trunc_f16_e32 v2, v2
	s_delay_alu instid0(VALU_DEP_2) | instskip(NEXT) | instid1(VALU_DEP_2)
	v_cvt_f32_f16_e32 v1, v1
	v_cvt_f32_f16_e32 v2, v2
	global_store_b64 v0, v[1:2], s[0:1] offset:40
	global_load_b64 v[1:2], v0, s[4:5] offset:48
	s_waitcnt vmcnt(0)
	v_cvt_f16_f32_e32 v1, v1
	v_cvt_f16_f32_e32 v2, v2
	s_delay_alu instid0(VALU_DEP_2) | instskip(NEXT) | instid1(VALU_DEP_2)
	v_ceil_f16_e32 v1, v1
	v_ceil_f16_e32 v2, v2
	s_delay_alu instid0(VALU_DEP_2) | instskip(NEXT) | instid1(VALU_DEP_2)
	v_cvt_f32_f16_e32 v1, v1
	v_cvt_f32_f16_e32 v2, v2
	global_store_b64 v0, v[1:2], s[0:1] offset:48
	global_load_b64 v[1:2], v0, s[4:5] offset:56
	s_waitcnt vmcnt(0)
	v_cvt_f16_f32_e32 v1, v1
	v_cvt_f16_f32_e32 v2, v2
	s_delay_alu instid0(VALU_DEP_2) | instskip(NEXT) | instid1(VALU_DEP_2)
	v_rndne_f16_e32 v1, v1
	v_rndne_f16_e32 v2, v2
	s_delay_alu instid0(VALU_DEP_2) | instskip(NEXT) | instid1(VALU_DEP_2)
	v_cvt_f32_f16_e32 v1, v1
	v_cvt_f32_f16_e32 v2, v2
	global_store_b64 v0, v[1:2], s[0:1] offset:56
	global_load_b64 v[1:2], v0, s[4:5] offset:64
	s_waitcnt vmcnt(0)
	v_cvt_f16_f32_e32 v1, v1
	v_cvt_f16_f32_e32 v2, v2
	s_delay_alu instid0(VALU_DEP_2) | instskip(NEXT) | instid1(VALU_DEP_2)
	v_cvt_f32_f16_e64 v3, |v1|
	v_cvt_f32_f16_e64 v4, |v2|
	s_delay_alu instid0(VALU_DEP_2) | instskip(NEXT) | instid1(VALU_DEP_1)
	v_mul_f32_e32 v3, 0x3f22f983, v3
	v_rndne_f32_e32 v3, v3
	s_delay_alu instid0(VALU_DEP_1) | instskip(NEXT) | instid1(VALU_DEP_4)
	v_cvt_i32_f32_e32 v7, v3
	v_mul_f32_e32 v4, 0x3f22f983, v4
	v_fma_mix_f32 v5, v3, s2, |v1| op_sel_hi:[0,0,1]
	s_delay_alu instid0(VALU_DEP_2) | instskip(NEXT) | instid1(VALU_DEP_1)
	v_rndne_f32_e32 v4, v4
	v_fma_mix_f32 v6, v4, s2, |v2| op_sel_hi:[0,0,1]
	s_delay_alu instid0(VALU_DEP_1) | instskip(NEXT) | instid1(VALU_DEP_1)
	v_dual_fmac_f32 v5, 0xb9fd0000, v3 :: v_dual_fmac_f32 v6, 0xb9fd0000, v4
	v_fma_mixlo_f16 v3, v3, s3, v5
	s_delay_alu instid0(VALU_DEP_2) | instskip(NEXT) | instid1(VALU_DEP_2)
	v_fma_mixlo_f16 v5, v4, s3, v6
	v_mul_f16_e32 v8, v3, v3
	v_and_b32_e32 v6, 1, v7
	v_lshlrev_b32_e32 v7, 14, v7
	v_cvt_i32_f32_e32 v4, v4
	v_mul_f16_e32 v9, v5, v5
	v_fmaak_f16 v11, s6, v8, 0xb155
	v_fmaak_f16 v13, s7, v8, 0xb7ff
	v_xor_b32_e32 v7, v7, v1
	v_cmp_eq_u32_e32 vcc_lo, 0, v6
	v_fmaak_f16 v12, s6, v9, 0xb155
	v_mul_f16_e32 v11, v8, v11
	v_fmaak_f16 v14, s7, v9, 0xb7ff
	v_fma_f16 v8, v8, v13, 1.0
	s_delay_alu instid0(VALU_DEP_4) | instskip(NEXT) | instid1(VALU_DEP_4)
	v_mul_f16_e32 v12, v9, v12
	v_fmac_f16_e32 v3, v3, v11
	v_lshlrev_b32_e32 v10, 14, v4
	v_fma_f16 v9, v9, v14, 1.0
	s_delay_alu instid0(VALU_DEP_4) | instskip(NEXT) | instid1(VALU_DEP_4)
	v_fmac_f16_e32 v5, v5, v12
	v_cndmask_b32_e32 v3, v8, v3, vcc_lo
	v_and_b32_e32 v7, 0x8000, v7
	v_xor_b32_e32 v10, v10, v2
	s_delay_alu instid0(VALU_DEP_2) | instskip(SKIP_1) | instid1(VALU_DEP_3)
	v_xor_b32_e32 v3, v7, v3
	v_and_b32_e32 v4, 1, v4
	v_and_b32_e32 v10, 0x8000, v10
	s_delay_alu instid0(VALU_DEP_2) | instskip(SKIP_2) | instid1(VALU_DEP_2)
	v_cmp_eq_u32_e32 vcc_lo, 0, v4
	v_cndmask_b32_e32 v4, v9, v5, vcc_lo
	v_cmp_class_f16_e64 vcc_lo, v1, 0x1f8
	v_xor_b32_e32 v4, v10, v4
	v_cndmask_b32_e32 v1, 0x7e00, v3, vcc_lo
	v_cmp_class_f16_e64 vcc_lo, v2, 0x1f8
	s_delay_alu instid0(VALU_DEP_2) | instskip(NEXT) | instid1(VALU_DEP_4)
	v_cvt_f32_f16_e32 v1, v1
	v_cndmask_b32_e32 v2, 0x7e00, v4, vcc_lo
	s_delay_alu instid0(VALU_DEP_1)
	v_cvt_f32_f16_e32 v2, v2
	global_store_b64 v0, v[1:2], s[0:1] offset:64
	global_load_b64 v[1:2], v0, s[4:5] offset:72
	s_waitcnt vmcnt(0)
	v_cvt_f16_f32_e32 v1, v1
	v_cvt_f16_f32_e32 v2, v2
	s_delay_alu instid0(VALU_DEP_2) | instskip(NEXT) | instid1(VALU_DEP_2)
	v_cvt_f32_f16_e64 v3, |v1|
	v_cvt_f32_f16_e64 v4, |v2|
	s_delay_alu instid0(VALU_DEP_1) | instskip(NEXT) | instid1(VALU_DEP_1)
	v_dual_mul_f32 v3, 0x3f22f983, v3 :: v_dual_mul_f32 v4, 0x3f22f983, v4
	v_rndne_f32_e32 v3, v3
	s_delay_alu instid0(VALU_DEP_2) | instskip(NEXT) | instid1(VALU_DEP_2)
	v_rndne_f32_e32 v4, v4
	v_fma_mix_f32 v5, v3, s2, |v1| op_sel_hi:[0,0,1]
	s_delay_alu instid0(VALU_DEP_2) | instskip(SKIP_1) | instid1(VALU_DEP_1)
	v_fma_mix_f32 v6, v4, s2, |v2| op_sel_hi:[0,0,1]
	s_mov_b32 s2, 0x3f317218
	v_dual_fmac_f32 v5, 0xb9fd0000, v3 :: v_dual_fmac_f32 v6, 0xb9fd0000, v4
	s_delay_alu instid0(VALU_DEP_1) | instskip(NEXT) | instid1(VALU_DEP_2)
	v_fma_mixlo_f16 v5, v3, s3, v5
	v_fma_mixlo_f16 v6, v4, s3, v6
	v_cvt_i32_f32_e32 v3, v3
	v_cvt_i32_f32_e32 v4, v4
	s_delay_alu instid0(VALU_DEP_4) | instskip(NEXT) | instid1(VALU_DEP_4)
	v_mul_f16_e32 v7, v5, v5
	v_mul_f16_e32 v8, v6, v6
	s_delay_alu instid0(VALU_DEP_4) | instskip(NEXT) | instid1(VALU_DEP_4)
	v_and_b32_e32 v11, 1, v3
	v_and_b32_e32 v12, 1, v4
	v_lshlrev_b32_e32 v4, 14, v4
	v_fmaak_f16 v9, s6, v7, 0xb155
	v_fmaak_f16 v10, s6, v8, 0xb155
	;; [unrolled: 1-line block ×3, first 2 shown]
	v_cmp_eq_u32_e32 vcc_lo, 0, v11
	v_and_b32_e32 v4, 0x8000, v4
	v_mul_f16_e32 v9, v7, v9
	v_mul_f16_e32 v10, v8, v10
	v_fma_f16 v7, v7, v13, 1.0
	s_delay_alu instid0(VALU_DEP_3) | instskip(SKIP_1) | instid1(VALU_DEP_4)
	v_fmac_f16_e32 v5, v5, v9
	v_fmaak_f16 v9, s7, v8, 0xb7ff
	v_fmac_f16_e32 v6, v6, v10
	s_delay_alu instid0(VALU_DEP_3) | instskip(NEXT) | instid1(VALU_DEP_3)
	v_xor_b32_e32 v5, 0x8000, v5
	v_fma_f16 v8, v8, v9, 1.0
	s_delay_alu instid0(VALU_DEP_3) | instskip(NEXT) | instid1(VALU_DEP_3)
	v_xor_b32_e32 v6, 0x8000, v6
	v_cndmask_b32_e32 v5, v5, v7, vcc_lo
	v_cmp_eq_u32_e32 vcc_lo, 0, v12
	s_delay_alu instid0(VALU_DEP_3) | instskip(NEXT) | instid1(VALU_DEP_1)
	v_dual_cndmask_b32 v6, v6, v8 :: v_dual_lshlrev_b32 v3, 14, v3
	v_and_b32_e32 v3, 0x8000, v3
	v_cmp_class_f16_e64 vcc_lo, v1, 0x1f8
	s_delay_alu instid0(VALU_DEP_3) | instskip(NEXT) | instid1(VALU_DEP_3)
	v_xor_b32_e32 v4, v4, v6
	v_xor_b32_e32 v3, v3, v5
	s_delay_alu instid0(VALU_DEP_1) | instskip(SKIP_1) | instid1(VALU_DEP_2)
	v_cndmask_b32_e32 v1, 0x7e00, v3, vcc_lo
	v_cmp_class_f16_e64 vcc_lo, v2, 0x1f8
	v_cvt_f32_f16_e32 v1, v1
	v_cndmask_b32_e32 v2, 0x7e00, v4, vcc_lo
	s_delay_alu instid0(VALU_DEP_1)
	v_cvt_f32_f16_e32 v2, v2
	global_store_b64 v0, v[1:2], s[0:1] offset:72
	global_load_b64 v[1:2], v0, s[4:5] offset:80
	s_waitcnt vmcnt(0)
	v_cvt_f16_f32_e32 v1, v1
	v_cvt_f16_f32_e32 v2, v2
	s_delay_alu instid0(VALU_DEP_2) | instskip(NEXT) | instid1(VALU_DEP_2)
	v_cvt_f32_f16_e32 v1, v1
	v_cvt_f32_f16_e32 v2, v2
	s_delay_alu instid0(VALU_DEP_1) | instskip(NEXT) | instid1(VALU_DEP_1)
	v_dual_mul_f32 v1, 0x3fb8aa3b, v1 :: v_dual_mul_f32 v2, 0x3fb8aa3b, v2
	v_exp_f32_e32 v1, v1
	s_delay_alu instid0(VALU_DEP_1) | instskip(SKIP_3) | instid1(VALU_DEP_2)
	v_exp_f32_e32 v2, v2
	s_waitcnt_depctr 0xfff
	v_cvt_f16_f32_e32 v1, v1
	v_cvt_f16_f32_e32 v2, v2
	v_cvt_f32_f16_e32 v1, v1
	s_delay_alu instid0(VALU_DEP_2)
	v_cvt_f32_f16_e32 v2, v2
	global_store_b64 v0, v[1:2], s[0:1] offset:80
	global_load_b64 v[1:2], v0, s[4:5] offset:88
	s_waitcnt vmcnt(0)
	v_cvt_f16_f32_e32 v1, v1
	v_cvt_f16_f32_e32 v2, v2
	s_delay_alu instid0(VALU_DEP_2) | instskip(NEXT) | instid1(VALU_DEP_1)
	v_exp_f16_e32 v1, v1
	v_exp_f16_e32 v2, v2
	s_waitcnt_depctr 0xfff
	v_cvt_f32_f16_e32 v1, v1
	v_cvt_f32_f16_e32 v2, v2
	global_store_b64 v0, v[1:2], s[0:1] offset:88
	global_load_b64 v[1:2], v0, s[4:5] offset:96
	s_waitcnt vmcnt(0)
	v_cvt_f16_f32_e32 v1, v1
	v_cvt_f16_f32_e32 v2, v2
	s_delay_alu instid0(VALU_DEP_2) | instskip(NEXT) | instid1(VALU_DEP_1)
	v_log_f16_e32 v1, v1
	v_log_f16_e32 v2, v2
	s_waitcnt_depctr 0xfff
	v_cvt_f32_f16_e32 v1, v1
	v_cvt_f32_f16_e32 v2, v2
	global_store_b64 v0, v[1:2], s[0:1] offset:96
	global_load_b64 v[1:2], v0, s[4:5] offset:104
	s_waitcnt vmcnt(0)
	v_cvt_f16_f32_e32 v1, v1
	v_cvt_f16_f32_e32 v2, v2
	s_delay_alu instid0(VALU_DEP_2) | instskip(NEXT) | instid1(VALU_DEP_2)
	v_cvt_f32_f16_e32 v1, v1
	v_cvt_f32_f16_e32 v2, v2
	s_delay_alu instid0(VALU_DEP_2) | instskip(NEXT) | instid1(VALU_DEP_1)
	v_log_f32_e32 v1, v1
	v_log_f32_e32 v2, v2
	s_waitcnt_depctr 0xfff
	v_fma_mixlo_f16 v1, v1, s2, 0
	v_fma_mixlo_f16 v2, v2, s2, 0
	s_mov_b32 s2, 0x3e9a209b
	s_delay_alu instid0(VALU_DEP_2) | instskip(NEXT) | instid1(VALU_DEP_2)
	v_cvt_f32_f16_e32 v1, v1
	v_cvt_f32_f16_e32 v2, v2
	global_store_b64 v0, v[1:2], s[0:1] offset:104
	global_load_b64 v[1:2], v0, s[4:5] offset:112
	s_waitcnt vmcnt(0)
	v_cvt_f16_f32_e32 v1, v1
	v_cvt_f16_f32_e32 v2, v2
	s_delay_alu instid0(VALU_DEP_2) | instskip(NEXT) | instid1(VALU_DEP_2)
	v_cvt_f32_f16_e32 v1, v1
	v_cvt_f32_f16_e32 v2, v2
	s_delay_alu instid0(VALU_DEP_2) | instskip(NEXT) | instid1(VALU_DEP_1)
	v_log_f32_e32 v1, v1
	v_log_f32_e32 v2, v2
	s_waitcnt_depctr 0xfff
	v_fma_mixlo_f16 v1, v1, s2, 0
	v_fma_mixlo_f16 v2, v2, s2, 0
	s_delay_alu instid0(VALU_DEP_2) | instskip(NEXT) | instid1(VALU_DEP_2)
	v_cvt_f32_f16_e32 v1, v1
	v_cvt_f32_f16_e32 v2, v2
	global_store_b64 v0, v[1:2], s[0:1] offset:112
	global_load_b64 v[1:2], v0, s[4:5] offset:120
	s_waitcnt vmcnt(0)
	v_cvt_f16_f32_e32 v1, v1
	v_cvt_f16_f32_e32 v2, v2
	s_delay_alu instid0(VALU_DEP_2) | instskip(NEXT) | instid1(VALU_DEP_1)
	v_sqrt_f16_e32 v1, v1
	v_sqrt_f16_e32 v2, v2
	s_waitcnt_depctr 0xfff
	v_cvt_f32_f16_e32 v1, v1
	v_cvt_f32_f16_e32 v2, v2
	global_store_b64 v0, v[1:2], s[0:1] offset:120
	global_load_b64 v[1:2], v0, s[4:5] offset:128
	s_waitcnt vmcnt(0)
	v_cvt_f16_f32_e64 v1, -v1
	v_cvt_f16_f32_e64 v2, -v2
	s_delay_alu instid0(VALU_DEP_2) | instskip(NEXT) | instid1(VALU_DEP_2)
	v_cvt_f32_f16_e32 v1, v1
	v_cvt_f32_f16_e32 v2, v2
	global_store_b64 v0, v[1:2], s[0:1] offset:128
	global_load_b64 v[1:2], v0, s[4:5] offset:136
	s_waitcnt vmcnt(0)
	v_cvt_f16_f32_e32 v1, v1
	v_cvt_f16_f32_e32 v2, v2
	s_delay_alu instid0(VALU_DEP_2) | instskip(NEXT) | instid1(VALU_DEP_1)
	v_rcp_f16_e32 v1, v1
	v_rcp_f16_e32 v2, v2
	s_waitcnt_depctr 0xfff
	v_cvt_f32_f16_e32 v1, v1
	v_cvt_f32_f16_e32 v2, v2
	global_store_b64 v0, v[1:2], s[0:1] offset:136
	s_nop 0
	s_sendmsg sendmsg(MSG_DEALLOC_VGPRS)
	s_endpgm
	.section	.rodata,"a",@progbits
	.p2align	6, 0x0
	.amdhsa_kernel _Z15fp162_arith_gpuP15HIP_vector_typeIfLj2EES1_S1_
		.amdhsa_group_segment_fixed_size 0
		.amdhsa_private_segment_fixed_size 0
		.amdhsa_kernarg_size 24
		.amdhsa_user_sgpr_count 15
		.amdhsa_user_sgpr_dispatch_ptr 0
		.amdhsa_user_sgpr_queue_ptr 0
		.amdhsa_user_sgpr_kernarg_segment_ptr 1
		.amdhsa_user_sgpr_dispatch_id 0
		.amdhsa_user_sgpr_private_segment_size 0
		.amdhsa_wavefront_size32 1
		.amdhsa_uses_dynamic_stack 0
		.amdhsa_enable_private_segment 0
		.amdhsa_system_sgpr_workgroup_id_x 1
		.amdhsa_system_sgpr_workgroup_id_y 0
		.amdhsa_system_sgpr_workgroup_id_z 0
		.amdhsa_system_sgpr_workgroup_info 0
		.amdhsa_system_vgpr_workitem_id 0
		.amdhsa_next_free_vgpr 15
		.amdhsa_next_free_sgpr 10
		.amdhsa_reserve_vcc 1
		.amdhsa_float_round_mode_32 0
		.amdhsa_float_round_mode_16_64 0
		.amdhsa_float_denorm_mode_32 3
		.amdhsa_float_denorm_mode_16_64 3
		.amdhsa_dx10_clamp 1
		.amdhsa_ieee_mode 1
		.amdhsa_fp16_overflow 0
		.amdhsa_workgroup_processor_mode 1
		.amdhsa_memory_ordered 1
		.amdhsa_forward_progress 0
		.amdhsa_shared_vgpr_count 0
		.amdhsa_exception_fp_ieee_invalid_op 0
		.amdhsa_exception_fp_denorm_src 0
		.amdhsa_exception_fp_ieee_div_zero 0
		.amdhsa_exception_fp_ieee_overflow 0
		.amdhsa_exception_fp_ieee_underflow 0
		.amdhsa_exception_fp_ieee_inexact 0
		.amdhsa_exception_int_div_zero 0
	.end_amdhsa_kernel
	.text
.Lfunc_end1:
	.size	_Z15fp162_arith_gpuP15HIP_vector_typeIfLj2EES1_S1_, .Lfunc_end1-_Z15fp162_arith_gpuP15HIP_vector_typeIfLj2EES1_S1_
                                        ; -- End function
	.section	.AMDGPU.csdata,"",@progbits
; Kernel info:
; codeLenInByte = 2040
; NumSgprs: 12
; NumVgprs: 15
; ScratchSize: 0
; MemoryBound: 0
; FloatMode: 240
; IeeeMode: 1
; LDSByteSize: 0 bytes/workgroup (compile time only)
; SGPRBlocks: 1
; VGPRBlocks: 1
; NumSGPRsForWavesPerEU: 12
; NumVGPRsForWavesPerEU: 15
; Occupancy: 16
; WaveLimiterHint : 0
; COMPUTE_PGM_RSRC2:SCRATCH_EN: 0
; COMPUTE_PGM_RSRC2:USER_SGPR: 15
; COMPUTE_PGM_RSRC2:TRAP_HANDLER: 0
; COMPUTE_PGM_RSRC2:TGID_X_EN: 1
; COMPUTE_PGM_RSRC2:TGID_Y_EN: 0
; COMPUTE_PGM_RSRC2:TGID_Z_EN: 0
; COMPUTE_PGM_RSRC2:TIDIG_COMP_CNT: 0
	.text
	.p2alignl 7, 3214868480
	.fill 96, 4, 3214868480
	.type	__hip_cuid_4a137a21d3626c5d,@object ; @__hip_cuid_4a137a21d3626c5d
	.section	.bss,"aw",@nobits
	.globl	__hip_cuid_4a137a21d3626c5d
__hip_cuid_4a137a21d3626c5d:
	.byte	0                               ; 0x0
	.size	__hip_cuid_4a137a21d3626c5d, 1

	.ident	"AMD clang version 19.0.0git (https://github.com/RadeonOpenCompute/llvm-project roc-6.4.0 25133 c7fe45cf4b819c5991fe208aaa96edf142730f1d)"
	.section	".note.GNU-stack","",@progbits
	.addrsig
	.addrsig_sym __hip_cuid_4a137a21d3626c5d
	.amdgpu_metadata
---
amdhsa.kernels:
  - .args:
      - .address_space:  global
        .offset:         0
        .size:           8
        .value_kind:     global_buffer
      - .address_space:  global
        .offset:         8
        .size:           8
        .value_kind:     global_buffer
      - .address_space:  global
        .offset:         16
        .size:           8
        .value_kind:     global_buffer
    .group_segment_fixed_size: 0
    .kernarg_segment_align: 8
    .kernarg_segment_size: 24
    .language:       OpenCL C
    .language_version:
      - 2
      - 0
    .max_flat_workgroup_size: 1024
    .name:           _Z14fp16_arith_gpuPfS_S_
    .private_segment_fixed_size: 0
    .sgpr_count:     10
    .sgpr_spill_count: 0
    .symbol:         _Z14fp16_arith_gpuPfS_S_.kd
    .uniform_work_group_size: 1
    .uses_dynamic_stack: false
    .vgpr_count:     8
    .vgpr_spill_count: 0
    .wavefront_size: 32
    .workgroup_processor_mode: 1
  - .args:
      - .address_space:  global
        .offset:         0
        .size:           8
        .value_kind:     global_buffer
      - .address_space:  global
        .offset:         8
        .size:           8
        .value_kind:     global_buffer
      - .address_space:  global
        .offset:         16
        .size:           8
        .value_kind:     global_buffer
    .group_segment_fixed_size: 0
    .kernarg_segment_align: 8
    .kernarg_segment_size: 24
    .language:       OpenCL C
    .language_version:
      - 2
      - 0
    .max_flat_workgroup_size: 1024
    .name:           _Z15fp162_arith_gpuP15HIP_vector_typeIfLj2EES1_S1_
    .private_segment_fixed_size: 0
    .sgpr_count:     12
    .sgpr_spill_count: 0
    .symbol:         _Z15fp162_arith_gpuP15HIP_vector_typeIfLj2EES1_S1_.kd
    .uniform_work_group_size: 1
    .uses_dynamic_stack: false
    .vgpr_count:     15
    .vgpr_spill_count: 0
    .wavefront_size: 32
    .workgroup_processor_mode: 1
amdhsa.target:   amdgcn-amd-amdhsa--gfx1100
amdhsa.version:
  - 1
  - 2
...

	.end_amdgpu_metadata
